;; amdgpu-corpus repo=ROCm/rocFFT kind=compiled arch=gfx906 opt=O3
	.text
	.amdgcn_target "amdgcn-amd-amdhsa--gfx906"
	.amdhsa_code_object_version 6
	.protected	fft_rtc_back_len500_factors_10_5_10_wgs_100_tpt_100_halfLds_half_op_CI_CI_unitstride_sbrr_R2C_dirReg ; -- Begin function fft_rtc_back_len500_factors_10_5_10_wgs_100_tpt_100_halfLds_half_op_CI_CI_unitstride_sbrr_R2C_dirReg
	.globl	fft_rtc_back_len500_factors_10_5_10_wgs_100_tpt_100_halfLds_half_op_CI_CI_unitstride_sbrr_R2C_dirReg
	.p2align	8
	.type	fft_rtc_back_len500_factors_10_5_10_wgs_100_tpt_100_halfLds_half_op_CI_CI_unitstride_sbrr_R2C_dirReg,@function
fft_rtc_back_len500_factors_10_5_10_wgs_100_tpt_100_halfLds_half_op_CI_CI_unitstride_sbrr_R2C_dirReg: ; @fft_rtc_back_len500_factors_10_5_10_wgs_100_tpt_100_halfLds_half_op_CI_CI_unitstride_sbrr_R2C_dirReg
; %bb.0:
	s_load_dwordx4 s[8:11], s[4:5], 0x58
	s_load_dwordx4 s[12:15], s[4:5], 0x0
	;; [unrolled: 1-line block ×3, first 2 shown]
	v_mul_u32_u24_e32 v1, 0x290, v0
	v_mov_b32_e32 v8, 0
	v_mov_b32_e32 v6, 0
	s_waitcnt lgkmcnt(0)
	v_cmp_lt_u64_e64 s[0:1], s[14:15], 2
	v_add_u32_sdwa v10, s6, v1 dst_sel:DWORD dst_unused:UNUSED_PAD src0_sel:DWORD src1_sel:WORD_1
	v_mov_b32_e32 v11, v8
	s_and_b64 vcc, exec, s[0:1]
	v_mov_b32_e32 v7, 0
	s_cbranch_vccnz .LBB0_8
; %bb.1:
	s_load_dwordx2 s[0:1], s[4:5], 0x10
	s_add_u32 s2, s18, 8
	s_addc_u32 s3, s19, 0
	s_add_u32 s6, s16, 8
	s_addc_u32 s7, s17, 0
	v_mov_b32_e32 v6, 0
	s_waitcnt lgkmcnt(0)
	s_add_u32 s20, s0, 8
	v_mov_b32_e32 v7, 0
	v_mov_b32_e32 v1, v6
	s_addc_u32 s21, s1, 0
	s_mov_b64 s[22:23], 1
	v_mov_b32_e32 v2, v7
.LBB0_2:                                ; =>This Inner Loop Header: Depth=1
	s_load_dwordx2 s[24:25], s[20:21], 0x0
                                        ; implicit-def: $vgpr3_vgpr4
	s_waitcnt lgkmcnt(0)
	v_or_b32_e32 v9, s25, v11
	v_cmp_ne_u64_e32 vcc, 0, v[8:9]
	s_and_saveexec_b64 s[0:1], vcc
	s_xor_b64 s[26:27], exec, s[0:1]
	s_cbranch_execz .LBB0_4
; %bb.3:                                ;   in Loop: Header=BB0_2 Depth=1
	v_cvt_f32_u32_e32 v3, s24
	v_cvt_f32_u32_e32 v4, s25
	s_sub_u32 s0, 0, s24
	s_subb_u32 s1, 0, s25
	v_mac_f32_e32 v3, 0x4f800000, v4
	v_rcp_f32_e32 v3, v3
	v_mul_f32_e32 v3, 0x5f7ffffc, v3
	v_mul_f32_e32 v4, 0x2f800000, v3
	v_trunc_f32_e32 v4, v4
	v_mac_f32_e32 v3, 0xcf800000, v4
	v_cvt_u32_f32_e32 v4, v4
	v_cvt_u32_f32_e32 v3, v3
	v_mul_lo_u32 v5, s0, v4
	v_mul_hi_u32 v9, s0, v3
	v_mul_lo_u32 v13, s1, v3
	v_mul_lo_u32 v12, s0, v3
	v_add_u32_e32 v5, v9, v5
	v_add_u32_e32 v5, v5, v13
	v_mul_hi_u32 v9, v3, v12
	v_mul_lo_u32 v13, v3, v5
	v_mul_hi_u32 v15, v3, v5
	v_mul_hi_u32 v14, v4, v12
	v_mul_lo_u32 v12, v4, v12
	v_mul_hi_u32 v16, v4, v5
	v_add_co_u32_e32 v9, vcc, v9, v13
	v_addc_co_u32_e32 v13, vcc, 0, v15, vcc
	v_mul_lo_u32 v5, v4, v5
	v_add_co_u32_e32 v9, vcc, v9, v12
	v_addc_co_u32_e32 v9, vcc, v13, v14, vcc
	v_addc_co_u32_e32 v12, vcc, 0, v16, vcc
	v_add_co_u32_e32 v5, vcc, v9, v5
	v_addc_co_u32_e32 v9, vcc, 0, v12, vcc
	v_add_co_u32_e32 v3, vcc, v3, v5
	v_addc_co_u32_e32 v4, vcc, v4, v9, vcc
	v_mul_lo_u32 v5, s0, v4
	v_mul_hi_u32 v9, s0, v3
	v_mul_lo_u32 v12, s1, v3
	v_mul_lo_u32 v13, s0, v3
	v_add_u32_e32 v5, v9, v5
	v_add_u32_e32 v5, v5, v12
	v_mul_lo_u32 v14, v3, v5
	v_mul_hi_u32 v15, v3, v13
	v_mul_hi_u32 v16, v3, v5
	v_mul_hi_u32 v12, v4, v13
	v_mul_lo_u32 v13, v4, v13
	v_mul_hi_u32 v9, v4, v5
	v_add_co_u32_e32 v14, vcc, v15, v14
	v_addc_co_u32_e32 v15, vcc, 0, v16, vcc
	v_mul_lo_u32 v5, v4, v5
	v_add_co_u32_e32 v13, vcc, v14, v13
	v_addc_co_u32_e32 v12, vcc, v15, v12, vcc
	v_addc_co_u32_e32 v9, vcc, 0, v9, vcc
	v_add_co_u32_e32 v5, vcc, v12, v5
	v_addc_co_u32_e32 v9, vcc, 0, v9, vcc
	v_add_co_u32_e32 v5, vcc, v3, v5
	v_addc_co_u32_e32 v9, vcc, v4, v9, vcc
	v_mad_u64_u32 v[3:4], s[0:1], v10, v9, 0
	v_mul_hi_u32 v12, v10, v5
	v_add_co_u32_e32 v14, vcc, v12, v3
	v_addc_co_u32_e32 v15, vcc, 0, v4, vcc
	v_mad_u64_u32 v[3:4], s[0:1], v11, v5, 0
	v_mad_u64_u32 v[12:13], s[0:1], v11, v9, 0
	v_add_co_u32_e32 v3, vcc, v14, v3
	v_addc_co_u32_e32 v3, vcc, v15, v4, vcc
	v_addc_co_u32_e32 v4, vcc, 0, v13, vcc
	v_add_co_u32_e32 v5, vcc, v3, v12
	v_addc_co_u32_e32 v9, vcc, 0, v4, vcc
	v_mul_lo_u32 v12, s25, v5
	v_mul_lo_u32 v13, s24, v9
	v_mad_u64_u32 v[3:4], s[0:1], s24, v5, 0
	v_add3_u32 v4, v4, v13, v12
	v_sub_u32_e32 v12, v11, v4
	v_mov_b32_e32 v13, s25
	v_sub_co_u32_e32 v3, vcc, v10, v3
	v_subb_co_u32_e64 v12, s[0:1], v12, v13, vcc
	v_subrev_co_u32_e64 v13, s[0:1], s24, v3
	v_subbrev_co_u32_e64 v12, s[0:1], 0, v12, s[0:1]
	v_cmp_le_u32_e64 s[0:1], s25, v12
	v_cndmask_b32_e64 v14, 0, -1, s[0:1]
	v_cmp_le_u32_e64 s[0:1], s24, v13
	v_cndmask_b32_e64 v13, 0, -1, s[0:1]
	v_cmp_eq_u32_e64 s[0:1], s25, v12
	v_cndmask_b32_e64 v12, v14, v13, s[0:1]
	v_add_co_u32_e64 v13, s[0:1], 2, v5
	v_addc_co_u32_e64 v14, s[0:1], 0, v9, s[0:1]
	v_add_co_u32_e64 v15, s[0:1], 1, v5
	v_addc_co_u32_e64 v16, s[0:1], 0, v9, s[0:1]
	v_subb_co_u32_e32 v4, vcc, v11, v4, vcc
	v_cmp_ne_u32_e64 s[0:1], 0, v12
	v_cmp_le_u32_e32 vcc, s25, v4
	v_cndmask_b32_e64 v12, v16, v14, s[0:1]
	v_cndmask_b32_e64 v14, 0, -1, vcc
	v_cmp_le_u32_e32 vcc, s24, v3
	v_cndmask_b32_e64 v3, 0, -1, vcc
	v_cmp_eq_u32_e32 vcc, s25, v4
	v_cndmask_b32_e32 v3, v14, v3, vcc
	v_cmp_ne_u32_e32 vcc, 0, v3
	v_cndmask_b32_e64 v3, v15, v13, s[0:1]
	v_cndmask_b32_e32 v4, v9, v12, vcc
	v_cndmask_b32_e32 v3, v5, v3, vcc
.LBB0_4:                                ;   in Loop: Header=BB0_2 Depth=1
	s_andn2_saveexec_b64 s[0:1], s[26:27]
	s_cbranch_execz .LBB0_6
; %bb.5:                                ;   in Loop: Header=BB0_2 Depth=1
	v_cvt_f32_u32_e32 v3, s24
	s_sub_i32 s26, 0, s24
	v_rcp_iflag_f32_e32 v3, v3
	v_mul_f32_e32 v3, 0x4f7ffffe, v3
	v_cvt_u32_f32_e32 v3, v3
	v_mul_lo_u32 v4, s26, v3
	v_mul_hi_u32 v4, v3, v4
	v_add_u32_e32 v3, v3, v4
	v_mul_hi_u32 v3, v10, v3
	v_mul_lo_u32 v4, v3, s24
	v_add_u32_e32 v5, 1, v3
	v_sub_u32_e32 v4, v10, v4
	v_subrev_u32_e32 v9, s24, v4
	v_cmp_le_u32_e32 vcc, s24, v4
	v_cndmask_b32_e32 v4, v4, v9, vcc
	v_cndmask_b32_e32 v3, v3, v5, vcc
	v_add_u32_e32 v5, 1, v3
	v_cmp_le_u32_e32 vcc, s24, v4
	v_cndmask_b32_e32 v3, v3, v5, vcc
	v_mov_b32_e32 v4, v8
.LBB0_6:                                ;   in Loop: Header=BB0_2 Depth=1
	s_or_b64 exec, exec, s[0:1]
	v_mul_lo_u32 v5, v4, s24
	v_mul_lo_u32 v9, v3, s25
	v_mad_u64_u32 v[12:13], s[0:1], v3, s24, 0
	s_load_dwordx2 s[0:1], s[6:7], 0x0
	s_load_dwordx2 s[24:25], s[2:3], 0x0
	v_add3_u32 v5, v13, v9, v5
	v_sub_co_u32_e32 v9, vcc, v10, v12
	v_subb_co_u32_e32 v5, vcc, v11, v5, vcc
	s_waitcnt lgkmcnt(0)
	v_mul_lo_u32 v10, s0, v5
	v_mul_lo_u32 v11, s1, v9
	v_mad_u64_u32 v[6:7], s[0:1], s0, v9, v[6:7]
	s_add_u32 s22, s22, 1
	s_addc_u32 s23, s23, 0
	s_add_u32 s2, s2, 8
	v_mul_lo_u32 v5, s24, v5
	v_mul_lo_u32 v12, s25, v9
	v_mad_u64_u32 v[1:2], s[0:1], s24, v9, v[1:2]
	v_add3_u32 v7, v11, v7, v10
	s_addc_u32 s3, s3, 0
	v_mov_b32_e32 v9, s14
	s_add_u32 s6, s6, 8
	v_mov_b32_e32 v10, s15
	s_addc_u32 s7, s7, 0
	v_cmp_ge_u64_e32 vcc, s[22:23], v[9:10]
	s_add_u32 s20, s20, 8
	v_add3_u32 v2, v12, v2, v5
	s_addc_u32 s21, s21, 0
	s_cbranch_vccnz .LBB0_9
; %bb.7:                                ;   in Loop: Header=BB0_2 Depth=1
	v_mov_b32_e32 v11, v4
	v_mov_b32_e32 v10, v3
	s_branch .LBB0_2
.LBB0_8:
	v_mov_b32_e32 v1, v6
	v_mov_b32_e32 v3, v10
	;; [unrolled: 1-line block ×4, first 2 shown]
.LBB0_9:
	s_load_dwordx2 s[0:1], s[4:5], 0x28
	s_lshl_b64 s[6:7], s[14:15], 3
	s_add_u32 s2, s18, s6
	s_addc_u32 s3, s19, s7
                                        ; implicit-def: $vgpr5
	s_waitcnt lgkmcnt(0)
	v_cmp_gt_u64_e32 vcc, s[0:1], v[3:4]
	v_cmp_le_u64_e64 s[0:1], s[0:1], v[3:4]
	s_and_saveexec_b64 s[4:5], s[0:1]
	s_xor_b64 s[0:1], exec, s[4:5]
; %bb.10:
	s_mov_b32 s4, 0x28f5c29
	v_mul_hi_u32 v5, v0, s4
                                        ; implicit-def: $vgpr6_vgpr7
	v_mul_u32_u24_e32 v5, 0x64, v5
	v_sub_u32_e32 v5, v0, v5
                                        ; implicit-def: $vgpr0
; %bb.11:
	s_andn2_saveexec_b64 s[4:5], s[0:1]
	s_cbranch_execz .LBB0_13
; %bb.12:
	s_add_u32 s0, s16, s6
	s_addc_u32 s1, s17, s7
	s_load_dwordx2 s[0:1], s[0:1], 0x0
	s_mov_b32 s6, 0x28f5c29
	v_mul_hi_u32 v5, v0, s6
	v_lshlrev_b64 v[6:7], 2, v[6:7]
	s_waitcnt lgkmcnt(0)
	v_mul_lo_u32 v10, s1, v3
	v_mul_lo_u32 v11, s0, v4
	v_mad_u64_u32 v[8:9], s[0:1], s0, v3, 0
	v_mul_u32_u24_e32 v5, 0x64, v5
	v_sub_u32_e32 v5, v0, v5
	v_add3_u32 v9, v9, v11, v10
	v_lshlrev_b64 v[8:9], 2, v[8:9]
	v_mov_b32_e32 v0, s9
	v_add_co_u32_e64 v8, s[0:1], s8, v8
	v_addc_co_u32_e64 v0, s[0:1], v0, v9, s[0:1]
	v_add_co_u32_e64 v6, s[0:1], v8, v6
	v_addc_co_u32_e64 v0, s[0:1], v0, v7, s[0:1]
	v_lshlrev_b32_e32 v8, 2, v5
	v_add_co_u32_e64 v6, s[0:1], v6, v8
	v_addc_co_u32_e64 v7, s[0:1], 0, v0, s[0:1]
	global_load_dword v0, v[6:7], off
	global_load_dword v9, v[6:7], off offset:400
	global_load_dword v10, v[6:7], off offset:800
	;; [unrolled: 1-line block ×4, first 2 shown]
	v_add_u32_e32 v6, 0, v8
	v_add_u32_e32 v7, 0x200, v6
	s_waitcnt vmcnt(3)
	ds_write2_b32 v6, v0, v9 offset1:100
	s_waitcnt vmcnt(1)
	ds_write2_b32 v7, v10, v11 offset0:72 offset1:172
	s_waitcnt vmcnt(0)
	ds_write_b32 v6, v12 offset:1600
.LBB0_13:
	s_or_b64 exec, exec, s[4:5]
	v_lshl_add_u32 v0, v5, 2, 0
	s_waitcnt lgkmcnt(0)
	s_barrier
	ds_read2_b32 v[8:9], v0 offset1:50
	ds_read2_b32 v[10:11], v0 offset0:200 offset1:250
	v_add_u32_e32 v6, 0x400, v0
	ds_read2_b32 v[17:18], v6 offset0:44 offset1:94
	ds_read2_b32 v[19:20], v0 offset0:100 offset1:150
	;; [unrolled: 1-line block ×3, first 2 shown]
	s_mov_b32 s8, 0xbb9c
	s_movk_i32 s14, 0x3b9c
	s_waitcnt lgkmcnt(2)
	v_add_f16_e32 v6, v10, v17
	v_fma_f16 v7, v6, -0.5, v8
	s_waitcnt lgkmcnt(0)
	v_sub_f16_sdwa v13, v19, v24 dst_sel:DWORD dst_unused:UNUSED_PAD src0_sel:WORD_1 src1_sel:WORD_1
	v_fma_f16 v6, v13, s8, v7
	v_sub_f16_sdwa v14, v10, v17 dst_sel:DWORD dst_unused:UNUSED_PAD src0_sel:WORD_1 src1_sel:WORD_1
	s_mov_b32 s6, 0xb8b4
	v_sub_f16_e32 v12, v24, v17
	v_sub_f16_e32 v15, v19, v10
	v_fma_f16 v7, v13, s14, v7
	s_movk_i32 s9, 0x38b4
	v_fma_f16 v6, v14, s6, v6
	v_add_f16_e32 v12, v15, v12
	s_movk_i32 s7, 0x34f2
	v_fma_f16 v7, v14, s9, v7
	v_fma_f16 v6, v12, s7, v6
	;; [unrolled: 1-line block ×3, first 2 shown]
	v_add_f16_e32 v12, v19, v24
	v_fma_f16 v15, v12, -0.5, v8
	v_fma_f16 v12, v14, s14, v15
	v_sub_f16_e32 v16, v17, v24
	v_sub_f16_e32 v21, v10, v19
	v_fma_f16 v14, v14, s8, v15
	v_fma_f16 v12, v13, s6, v12
	v_add_f16_e32 v16, v21, v16
	v_fma_f16 v13, v13, s9, v14
	v_fma_f16 v14, v16, s7, v13
	v_add_f16_sdwa v13, v10, v17 dst_sel:DWORD dst_unused:UNUSED_PAD src0_sel:WORD_1 src1_sel:WORD_1
	v_lshrrev_b32_e32 v21, 16, v8
	v_fma_f16 v13, v13, -0.5, v21
	v_sub_f16_e32 v22, v19, v24
	v_fma_f16 v12, v16, s7, v12
	v_fma_f16 v15, v22, s14, v13
	v_sub_f16_e32 v23, v10, v17
	v_sub_f16_sdwa v16, v19, v10 dst_sel:DWORD dst_unused:UNUSED_PAD src0_sel:WORD_1 src1_sel:WORD_1
	v_sub_f16_sdwa v26, v24, v17 dst_sel:DWORD dst_unused:UNUSED_PAD src0_sel:WORD_1 src1_sel:WORD_1
	v_fma_f16 v13, v22, s8, v13
	v_fma_f16 v15, v23, s9, v15
	v_add_f16_e32 v16, v16, v26
	v_fma_f16 v13, v23, s6, v13
	v_fma_f16 v15, v16, s7, v15
	;; [unrolled: 1-line block ×3, first 2 shown]
	v_add_f16_sdwa v13, v19, v24 dst_sel:DWORD dst_unused:UNUSED_PAD src0_sel:WORD_1 src1_sel:WORD_1
	v_fma_f16 v13, v13, -0.5, v21
	v_fma_f16 v21, v23, s8, v13
	v_sub_f16_sdwa v26, v10, v19 dst_sel:DWORD dst_unused:UNUSED_PAD src0_sel:WORD_1 src1_sel:WORD_1
	v_sub_f16_sdwa v27, v17, v24 dst_sel:DWORD dst_unused:UNUSED_PAD src0_sel:WORD_1 src1_sel:WORD_1
	v_fma_f16 v13, v23, s14, v13
	v_add_f16_e32 v26, v26, v27
	v_fma_f16 v13, v22, s6, v13
	v_fma_f16 v21, v22, s9, v21
	v_fma_f16 v22, v26, s7, v13
	v_add_f16_e32 v13, v11, v18
	v_fma_f16 v13, v13, -0.5, v9
	v_sub_f16_sdwa v23, v20, v25 dst_sel:DWORD dst_unused:UNUSED_PAD src0_sel:WORD_1 src1_sel:WORD_1
	v_fma_f16 v21, v26, s7, v21
	v_fma_f16 v26, v23, s8, v13
	v_sub_f16_sdwa v27, v11, v18 dst_sel:DWORD dst_unused:UNUSED_PAD src0_sel:WORD_1 src1_sel:WORD_1
	v_sub_f16_e32 v28, v25, v18
	v_sub_f16_e32 v29, v20, v11
	v_fma_f16 v26, v27, s6, v26
	v_add_f16_e32 v28, v29, v28
	v_fma_f16 v13, v23, s14, v13
	v_fma_f16 v29, v28, s7, v26
	;; [unrolled: 1-line block ×3, first 2 shown]
	v_add_f16_e32 v26, v20, v25
	v_fma_f16 v13, v28, s7, v13
	v_fma_f16 v26, v26, -0.5, v9
	v_sub_f16_e32 v28, v18, v25
	v_sub_f16_e32 v30, v11, v20
	v_add_f16_e32 v28, v30, v28
	v_fma_f16 v30, v27, s14, v26
	v_fma_f16 v26, v27, s8, v26
	v_pk_add_f16 v8, v8, v19
	v_fma_f16 v19, v23, s6, v30
	v_fma_f16 v23, v23, s9, v26
	;; [unrolled: 1-line block ×3, first 2 shown]
	v_pk_add_f16 v23, v9, v20
	v_sub_f16_sdwa v26, v20, v11 dst_sel:DWORD dst_unused:UNUSED_PAD src0_sel:WORD_1 src1_sel:WORD_1
	v_sub_f16_sdwa v27, v25, v18 dst_sel:DWORD dst_unused:UNUSED_PAD src0_sel:WORD_1 src1_sel:WORD_1
	v_pk_add_f16 v8, v8, v10
	v_lshrrev_b32_e32 v9, 16, v9
	v_add_f16_e32 v26, v26, v27
	v_add_f16_sdwa v27, v11, v18 dst_sel:DWORD dst_unused:UNUSED_PAD src0_sel:WORD_1 src1_sel:WORD_1
	v_pk_add_f16 v10, v23, v11
	v_pk_add_f16 v8, v8, v17
	v_fma_f16 v19, v28, s7, v19
	v_fma_f16 v27, v27, -0.5, v9
	v_sub_f16_e32 v28, v20, v25
	v_sub_f16_e32 v32, v11, v18
	v_sub_f16_sdwa v11, v11, v20 dst_sel:DWORD dst_unused:UNUSED_PAD src0_sel:WORD_1 src1_sel:WORD_1
	v_add_f16_sdwa v20, v20, v25 dst_sel:DWORD dst_unused:UNUSED_PAD src0_sel:WORD_1 src1_sel:WORD_1
	v_pk_add_f16 v23, v8, v24
	v_pk_add_f16 v8, v10, v18
	v_fma_f16 v30, v28, s14, v27
	v_pk_add_f16 v24, v8, v25
	v_fma_f16 v8, v20, -0.5, v9
	v_fma_f16 v30, v32, s9, v30
	v_fma_f16 v9, v32, s8, v8
	v_sub_f16_sdwa v10, v18, v25 dst_sel:DWORD dst_unused:UNUSED_PAD src0_sel:WORD_1 src1_sel:WORD_1
	v_fma_f16 v8, v32, s14, v8
	v_fma_f16 v30, v26, s7, v30
	;; [unrolled: 1-line block ×3, first 2 shown]
	v_add_f16_e32 v10, v11, v10
	v_fma_f16 v8, v28, s6, v8
	v_fma_f16 v27, v28, s8, v27
	;; [unrolled: 1-line block ×4, first 2 shown]
	v_mul_f16_e32 v10, 0xb8b4, v30
	s_movk_i32 s0, 0x3a79
	v_fma_f16 v27, v32, s6, v27
	v_fma_f16 v25, v29, s0, v10
	v_mul_f16_e32 v10, 0xbb9c, v9
	v_fma_f16 v33, v26, s7, v27
	v_fma_f16 v26, v19, s7, v10
	v_mul_f16_e32 v10, 0xbb9c, v8
	s_mov_b32 s1, 0xb4f2
	v_fma_f16 v27, v31, s1, v10
	v_mul_f16_e32 v10, 0xb8b4, v33
	s_mov_b32 s1, 0xba79
	v_mul_f16_e32 v8, 0xb4f2, v8
	v_fma_f16 v28, v13, s1, v10
	v_mul_f16_e32 v10, 0x38b4, v29
	v_mul_f16_e32 v9, 0x34f2, v9
	v_fma_f16 v31, v31, s14, v8
	v_mul_f16_e32 v8, 0xba79, v33
	v_fma_f16 v29, v30, s0, v10
	v_fma_f16 v30, v19, s14, v9
	;; [unrolled: 1-line block ×3, first 2 shown]
	v_sub_f16_e32 v8, v6, v25
	v_sub_f16_e32 v9, v12, v26
	;; [unrolled: 1-line block ×7, first 2 shown]
	v_cmp_gt_u32_e64 s[0:1], 50, v5
	v_sub_f16_e32 v17, v16, v32
	v_pk_add_f16 v13, v23, v24 neg_lo:[0,1] neg_hi:[0,1]
	s_barrier
	s_and_saveexec_b64 s[4:5], s[0:1]
	s_cbranch_execz .LBB0_15
; %bb.14:
	v_add_f16_e32 v15, v15, v29
	v_add_f16_e32 v6, v6, v25
	;; [unrolled: 1-line block ×6, first 2 shown]
	v_mad_u32_u24 v25, v5, 36, v0
	v_pk_add_f16 v23, v23, v24
	v_pack_b32_f16 v6, v6, v15
	v_add_f16_e32 v16, v16, v32
	v_add_f16_e32 v7, v7, v28
	ds_write2_b32 v25, v23, v6 offset1:1
	v_pack_b32_f16 v6, v14, v22
	v_pack_b32_f16 v12, v12, v21
	ds_write2_b32 v25, v12, v6 offset0:2 offset1:3
	v_pack_b32_f16 v6, v7, v16
	s_mov_b32 s15, 0x5040100
	ds_write2_b32 v25, v6, v13 offset0:4 offset1:5
	v_perm_b32 v6, v18, v9, s15
	v_perm_b32 v7, v20, v8, s15
	ds_write2_b32 v25, v7, v6 offset0:6 offset1:7
	v_perm_b32 v6, v17, v11, s15
	v_perm_b32 v7, v19, v10, s15
	ds_write2_b32 v25, v7, v6 offset0:8 offset1:9
.LBB0_15:
	s_or_b64 exec, exec, s[4:5]
	s_load_dwordx2 s[4:5], s[2:3], 0x0
	s_movk_i32 s2, 0xcd
	v_mul_lo_u16_sdwa v6, v5, s2 dst_sel:DWORD dst_unused:UNUSED_PAD src0_sel:BYTE_0 src1_sel:DWORD
	v_lshrrev_b16_e32 v26, 11, v6
	v_mul_lo_u16_e32 v6, 10, v26
	v_sub_u16_e32 v12, v5, v6
	v_mov_b32_e32 v6, 4
	v_lshlrev_b32_sdwa v6, v6, v12 dst_sel:DWORD dst_unused:UNUSED_PAD src0_sel:DWORD src1_sel:BYTE_0
	s_waitcnt lgkmcnt(0)
	s_barrier
	global_load_dwordx4 v[21:24], v6, s[12:13]
	v_add_u32_e32 v14, 0x200, v0
	ds_read2_b32 v[6:7], v0 offset1:100
	ds_read_u16 v16, v0 offset:2
	ds_read_b32 v25, v0 offset:1600
	ds_read2_b32 v[14:15], v14 offset0:72 offset1:172
	v_mov_b32_e32 v27, 2
	v_lshlrev_b32_sdwa v27, v27, v12 dst_sel:DWORD dst_unused:UNUSED_PAD src0_sel:DWORD src1_sel:BYTE_0
	s_waitcnt lgkmcnt(0)
	v_lshrrev_b32_e32 v12, 16, v7
	v_lshrrev_b32_e32 v28, 16, v25
	;; [unrolled: 1-line block ×4, first 2 shown]
	s_waitcnt vmcnt(0)
	s_barrier
	v_mul_f16_sdwa v31, v21, v12 dst_sel:DWORD dst_unused:UNUSED_PAD src0_sel:WORD_1 src1_sel:DWORD
	v_mul_f16_sdwa v32, v21, v7 dst_sel:DWORD dst_unused:UNUSED_PAD src0_sel:WORD_1 src1_sel:DWORD
	;; [unrolled: 1-line block ×8, first 2 shown]
	v_fma_f16 v7, v21, v7, v31
	v_fma_f16 v12, v21, v12, -v32
	v_fma_f16 v14, v22, v14, v33
	v_fma_f16 v21, v22, v29, -v34
	;; [unrolled: 2-line block ×4, first 2 shown]
	v_add_f16_e32 v25, v7, v6
	v_add_f16_e32 v28, v14, v15
	v_sub_f16_e32 v31, v7, v14
	v_sub_f16_e32 v32, v23, v15
	v_add_f16_e32 v33, v7, v23
	v_add_f16_e32 v36, v16, v12
	;; [unrolled: 1-line block ×3, first 2 shown]
	v_sub_f16_e32 v29, v12, v24
	v_sub_f16_e32 v30, v21, v22
	;; [unrolled: 1-line block ×7, first 2 shown]
	v_add_f16_e32 v41, v12, v24
	v_sub_f16_e32 v12, v21, v12
	v_sub_f16_e32 v42, v22, v24
	v_fma_f16 v28, v28, -0.5, v6
	v_fma_f16 v6, v33, -0.5, v6
	v_add_f16_e32 v14, v25, v14
	v_add_f16_e32 v25, v31, v32
	;; [unrolled: 1-line block ×3, first 2 shown]
	v_fma_f16 v32, v37, -0.5, v16
	v_sub_f16_e32 v40, v24, v22
	v_add_f16_e32 v31, v34, v35
	v_fma_f16 v16, v41, -0.5, v16
	v_add_f16_e32 v34, v12, v42
	v_add_f16_e32 v12, v14, v15
	v_fma_f16 v14, v29, s8, v28
	v_fma_f16 v15, v29, s14, v28
	;; [unrolled: 1-line block ×4, first 2 shown]
	v_add_f16_e32 v21, v21, v22
	v_fma_f16 v22, v38, s14, v32
	v_fma_f16 v32, v38, s8, v32
	v_add_f16_e32 v33, v39, v40
	v_fma_f16 v36, v7, s8, v16
	v_fma_f16 v37, v7, s14, v16
	;; [unrolled: 3-line block ×3, first 2 shown]
	v_fma_f16 v15, v29, s6, v28
	v_fma_f16 v23, v29, s9, v35
	v_add_f16_e32 v16, v21, v24
	v_fma_f16 v21, v7, s9, v22
	v_fma_f16 v22, v7, s6, v32
	v_fma_f16 v24, v38, s9, v36
	v_fma_f16 v7, v25, s7, v12
	v_fma_f16 v12, v25, s7, v14
	v_fma_f16 v14, v31, s7, v15
	v_fma_f16 v15, v31, s7, v23
	v_fma_f16 v21, v33, s7, v21
	v_fma_f16 v25, v33, s7, v22
	v_fma_f16 v22, v38, s6, v37
	v_mul_u32_u24_e32 v23, 0xc8, v26
	v_fma_f16 v24, v34, s7, v24
	v_fma_f16 v22, v34, s7, v22
	v_add3_u32 v23, 0, v23, v27
	v_pack_b32_f16 v26, v6, v16
	v_pack_b32_f16 v27, v7, v21
	ds_write2_b32 v23, v26, v27 offset1:10
	v_pack_b32_f16 v26, v14, v24
	v_pack_b32_f16 v27, v15, v22
	ds_write2_b32 v23, v26, v27 offset0:20 offset1:30
	v_pack_b32_f16 v26, v12, v25
	ds_write_b32 v23, v26 offset:160
	v_lshrrev_b32_e32 v23, 16, v13
	s_waitcnt lgkmcnt(0)
	s_barrier
	s_and_saveexec_b64 s[2:3], s[0:1]
	s_cbranch_execz .LBB0_17
; %bb.16:
	v_add_u32_e32 v8, 0x400, v0
	ds_read2_b32 v[6:7], v0 offset1:50
	ds_read2_b32 v[10:11], v8 offset0:144 offset1:194
	ds_read2_b32 v[14:15], v0 offset0:100 offset1:150
	;; [unrolled: 1-line block ×4, first 2 shown]
	s_waitcnt lgkmcnt(3)
	v_lshrrev_b32_e32 v19, 16, v10
	v_lshrrev_b32_e32 v16, 16, v6
	v_lshrrev_b32_e32 v17, 16, v11
	v_lshrrev_b32_e32 v21, 16, v7
	s_waitcnt lgkmcnt(2)
	v_lshrrev_b32_e32 v24, 16, v14
	v_lshrrev_b32_e32 v22, 16, v15
	s_waitcnt lgkmcnt(1)
	v_lshrrev_b32_e32 v25, 16, v12
	v_lshrrev_b32_e32 v23, 16, v13
	;; [unrolled: 3-line block ×3, first 2 shown]
.LBB0_17:
	s_or_b64 exec, exec, s[2:3]
	s_barrier
	s_and_saveexec_b64 s[6:7], s[0:1]
	s_cbranch_execz .LBB0_19
; %bb.18:
	v_subrev_u32_e32 v26, 50, v5
	v_cndmask_b32_e64 v26, v26, v5, s[0:1]
	v_mul_i32_i24_e32 v26, 9, v26
	v_mov_b32_e32 v27, 0
	v_lshlrev_b64 v[26:27], 2, v[26:27]
	v_mov_b32_e32 v28, s13
	v_add_co_u32_e64 v34, s[2:3], s12, v26
	v_addc_co_u32_e64 v35, s[2:3], v28, v27, s[2:3]
	global_load_dwordx4 v[26:29], v[34:35], off offset:160
	global_load_dwordx4 v[30:33], v[34:35], off offset:176
	global_load_dword v36, v[34:35], off offset:192
	s_mov_b32 s2, 0xbb9c
	s_movk_i32 s9, 0x3b9c
	s_mov_b32 s3, 0xb8b4
	s_movk_i32 s14, 0x38b4
	s_movk_i32 s8, 0x34f2
	s_mov_b32 s15, 0xba79
	s_mov_b32 s16, 0xb4f2
	s_movk_i32 s17, 0x3a79
	s_waitcnt vmcnt(2)
	v_mul_f16_sdwa v34, v14, v27 dst_sel:DWORD dst_unused:UNUSED_PAD src0_sel:DWORD src1_sel:WORD_1
	v_mul_f16_sdwa v35, v12, v29 dst_sel:DWORD dst_unused:UNUSED_PAD src0_sel:DWORD src1_sel:WORD_1
	;; [unrolled: 1-line block ×4, first 2 shown]
	s_waitcnt vmcnt(1)
	v_mul_f16_sdwa v37, v10, v33 dst_sel:DWORD dst_unused:UNUSED_PAD src0_sel:DWORD src1_sel:WORD_1
	v_mul_f16_sdwa v41, v25, v29 dst_sel:DWORD dst_unused:UNUSED_PAD src0_sel:DWORD src1_sel:WORD_1
	;; [unrolled: 1-line block ×3, first 2 shown]
	s_waitcnt vmcnt(0)
	v_mul_f16_sdwa v45, v17, v36 dst_sel:DWORD dst_unused:UNUSED_PAD src0_sel:DWORD src1_sel:WORD_1
	v_mul_f16_sdwa v46, v18, v32 dst_sel:DWORD dst_unused:UNUSED_PAD src0_sel:DWORD src1_sel:WORD_1
	v_fma_f16 v14, v14, v27, v39
	v_fma_f16 v39, v15, v28, v43
	v_mul_f16_sdwa v15, v15, v28 dst_sel:DWORD dst_unused:UNUSED_PAD src0_sel:DWORD src1_sel:WORD_1
	v_fma_f16 v24, v24, v27, -v34
	v_mul_f16_sdwa v27, v11, v36 dst_sel:DWORD dst_unused:UNUSED_PAD src0_sel:DWORD src1_sel:WORD_1
	v_fma_f16 v25, v25, v29, -v35
	v_mul_f16_sdwa v34, v13, v30 dst_sel:DWORD dst_unused:UNUSED_PAD src0_sel:DWORD src1_sel:WORD_1
	v_mul_f16_sdwa v35, v9, v32 dst_sel:DWORD dst_unused:UNUSED_PAD src0_sel:DWORD src1_sel:WORD_1
	;; [unrolled: 1-line block ×6, first 2 shown]
	v_fma_f16 v19, v19, v33, -v37
	v_fma_f16 v13, v13, v30, v44
	v_fma_f16 v11, v11, v36, v45
	;; [unrolled: 1-line block ×3, first 2 shown]
	v_fma_f16 v15, v22, v28, -v15
	v_fma_f16 v17, v17, v36, -v27
	;; [unrolled: 1-line block ×5, first 2 shown]
	v_mul_f16_sdwa v37, v7, v26 dst_sel:DWORD dst_unused:UNUSED_PAD src0_sel:DWORD src1_sel:WORD_1
	v_fma_f16 v12, v12, v29, v41
	v_fma_f16 v8, v8, v31, v42
	;; [unrolled: 1-line block ×3, first 2 shown]
	v_sub_f16_e32 v30, v39, v13
	v_sub_f16_e32 v31, v11, v9
	v_add_f16_e32 v32, v13, v9
	v_sub_f16_e32 v35, v15, v22
	v_sub_f16_e32 v36, v17, v18
	v_add_f16_e32 v42, v24, v19
	v_fma_f16 v10, v10, v33, v40
	v_sub_f16_e32 v29, v12, v8
	v_sub_f16_e32 v40, v25, v24
	;; [unrolled: 1-line block ×5, first 2 shown]
	v_add_f16_e32 v30, v30, v31
	v_fma_f16 v31, v32, -0.5, v7
	v_add_f16_e32 v32, v35, v36
	v_fma_f16 v36, v42, -0.5, v16
	v_fma_f16 v21, v21, v26, -v37
	v_sub_f16_e32 v23, v24, v25
	v_sub_f16_e32 v26, v19, v20
	;; [unrolled: 1-line block ×3, first 2 shown]
	v_add_f16_e32 v45, v39, v11
	v_add_f16_e32 v35, v40, v41
	;; [unrolled: 1-line block ×3, first 2 shown]
	v_fma_f16 v44, v29, s9, v36
	v_fma_f16 v36, v29, s2, v36
	v_sub_f16_e32 v34, v22, v18
	v_add_f16_e32 v23, v23, v26
	v_sub_f16_e32 v26, v22, v15
	v_fma_f16 v41, v45, -0.5, v7
	v_fma_f16 v44, v28, s3, v44
	v_sub_f16_e32 v45, v18, v17
	v_fma_f16 v36, v28, s14, v36
	v_sub_f16_e32 v33, v15, v17
	v_fma_f16 v44, v35, s8, v44
	v_add_f16_e32 v26, v26, v45
	v_fma_f16 v45, v34, s2, v41
	v_fma_f16 v35, v35, s8, v36
	v_add_f16_e32 v36, v15, v17
	v_fma_f16 v41, v34, s9, v41
	v_sub_f16_e32 v38, v13, v9
	v_fma_f16 v45, v33, s14, v45
	v_fma_f16 v36, v36, -0.5, v21
	v_fma_f16 v41, v33, s3, v41
	v_sub_f16_e32 v37, v39, v11
	v_fma_f16 v45, v40, s8, v45
	v_fma_f16 v40, v40, s8, v41
	;; [unrolled: 1-line block ×6, first 2 shown]
	v_add_f16_e32 v27, v25, v20
	v_fma_f16 v41, v26, s8, v41
	v_fma_f16 v26, v26, s8, v36
	v_add_f16_e32 v36, v22, v18
	v_fma_f16 v27, v27, -0.5, v16
	v_fma_f16 v36, v36, -0.5, v21
	v_fma_f16 v42, v28, s2, v27
	v_fma_f16 v27, v28, s9, v27
	;; [unrolled: 1-line block ×3, first 2 shown]
	v_add_f16_e32 v16, v16, v24
	v_fma_f16 v43, v33, s9, v31
	v_fma_f16 v28, v38, s3, v28
	v_add_f16_e32 v16, v16, v25
	v_fma_f16 v43, v34, s14, v43
	v_fma_f16 v28, v32, s8, v28
	;; [unrolled: 3-line block ×3, first 2 shown]
	v_fma_f16 v27, v29, s14, v27
	v_mul_f16_e32 v29, 0xba79, v28
	v_add_f16_e32 v16, v16, v19
	v_add_f16_e32 v15, v21, v15
	v_sub_f16_e32 v19, v24, v19
	v_mul_f16_e32 v24, 0xb8b4, v28
	v_fma_f16 v29, v43, s14, v29
	v_add_f16_e32 v15, v15, v22
	v_fma_f16 v24, v43, s15, v24
	v_sub_f16_e32 v28, v12, v14
	v_sub_f16_e32 v43, v8, v10
	v_add_f16_e32 v15, v15, v18
	v_sub_f16_e32 v18, v14, v12
	v_sub_f16_e32 v21, v10, v8
	v_add_f16_e32 v28, v28, v43
	v_add_f16_e32 v43, v14, v10
	v_fma_f16 v31, v33, s2, v31
	v_mul_f16_e32 v33, 0xb4f2, v41
	v_add_f16_e32 v18, v18, v21
	v_add_f16_e32 v21, v12, v8
	v_sub_f16_e32 v20, v25, v20
	v_fma_f16 v43, v43, -0.5, v6
	v_mul_f16_e32 v41, 0xbb9c, v41
	v_fma_f16 v33, v45, s9, v33
	v_fma_f16 v36, v37, s9, v36
	v_fma_f16 v21, v21, -0.5, v6
	v_fma_f16 v41, v45, s16, v41
	v_fma_f16 v45, v20, s2, v43
	;; [unrolled: 1-line block ×8, first 2 shown]
	v_add_f16_e32 v6, v6, v14
	v_add_f16_e32 v7, v7, v39
	v_fma_f16 v31, v34, s3, v31
	v_fma_f16 v32, v32, s8, v36
	;; [unrolled: 1-line block ×4, first 2 shown]
	v_add_f16_e32 v6, v6, v12
	v_add_f16_e32 v7, v7, v13
	v_fma_f16 v30, v30, s8, v31
	v_mul_f16_e32 v36, 0x3a79, v32
	v_fma_f16 v22, v18, s8, v22
	v_fma_f16 v18, v18, s8, v19
	v_mul_f16_e32 v19, 0xb8b4, v32
	v_add_f16_e32 v6, v6, v8
	v_add_f16_e32 v7, v7, v9
	v_fma_f16 v42, v23, s8, v42
	v_fma_f16 v23, v23, s8, v27
	v_mul_f16_e32 v31, 0x34f2, v26
	v_fma_f16 v36, v30, s14, v36
	v_add_f16_e32 v15, v15, v17
	v_mul_f16_e32 v26, 0xbb9c, v26
	v_fma_f16 v19, v30, s17, v19
	v_add_f16_e32 v6, v6, v10
	v_add_f16_e32 v7, v7, v11
	v_fma_f16 v31, v40, s9, v31
	v_fma_f16 v45, v28, s8, v45
	;; [unrolled: 1-line block ×4, first 2 shown]
	v_sub_f16_e32 v20, v18, v19
	v_sub_f16_e32 v8, v6, v7
	v_add_f16_e32 v12, v23, v36
	v_add_f16_e32 v13, v16, v15
	;; [unrolled: 1-line block ×4, first 2 shown]
	v_sub_f16_e32 v17, v16, v15
	v_add_f16_e32 v10, v44, v33
	v_add_f16_e32 v11, v35, v31
	;; [unrolled: 1-line block ×4, first 2 shown]
	v_pack_b32_f16 v6, v6, v13
	v_pack_b32_f16 v7, v18, v12
	v_add_f16_e32 v9, v42, v29
	v_add_f16_e32 v14, v22, v24
	ds_write2_b32 v0, v6, v7 offset1:50
	v_pack_b32_f16 v6, v16, v11
	v_pack_b32_f16 v7, v15, v10
	v_sub_f16_e32 v37, v35, v31
	v_sub_f16_e32 v38, v23, v36
	;; [unrolled: 1-line block ×3, first 2 shown]
	ds_write2_b32 v0, v6, v7 offset0:100 offset1:150
	v_pack_b32_f16 v6, v14, v9
	v_pack_b32_f16 v7, v8, v17
	v_sub_f16_e32 v27, v42, v29
	v_sub_f16_e32 v34, v44, v33
	;; [unrolled: 1-line block ×4, first 2 shown]
	ds_write2_b32 v0, v6, v7 offset0:200 offset1:250
	v_pack_b32_f16 v6, v20, v38
	v_pack_b32_f16 v7, v40, v37
	v_add_u32_e32 v8, 0x400, v0
	ds_write2_b32 v8, v6, v7 offset0:44 offset1:94
	v_pack_b32_f16 v6, v43, v34
	v_pack_b32_f16 v7, v25, v27
	ds_write2_b32 v8, v6, v7 offset0:144 offset1:194
.LBB0_19:
	s_or_b64 exec, exec, s[6:7]
	s_waitcnt lgkmcnt(0)
	s_barrier
	ds_read_b32 v11, v0
	v_lshlrev_b32_e32 v6, 2, v5
	v_sub_u32_e32 v8, 0, v6
	v_cmp_ne_u32_e64 s[2:3], 0, v5
                                        ; implicit-def: $vgpr12
                                        ; implicit-def: $vgpr10
                                        ; implicit-def: $vgpr9
                                        ; implicit-def: $vgpr6_vgpr7
	s_and_saveexec_b64 s[6:7], s[2:3]
	s_xor_b64 s[6:7], exec, s[6:7]
	s_cbranch_execz .LBB0_21
; %bb.20:
	v_mov_b32_e32 v6, 0
	v_lshlrev_b64 v[9:10], 2, v[5:6]
	v_mov_b32_e32 v7, s13
	v_add_co_u32_e64 v9, s[2:3], s12, v9
	v_addc_co_u32_e64 v10, s[2:3], v7, v10, s[2:3]
	global_load_dword v7, v[9:10], off offset:1960
	ds_read_b32 v9, v8 offset:2000
	s_waitcnt lgkmcnt(0)
	v_add_f16_sdwa v12, v9, v11 dst_sel:DWORD dst_unused:UNUSED_PAD src0_sel:WORD_1 src1_sel:WORD_1
	v_sub_f16_e32 v13, v11, v9
	v_add_f16_e32 v10, v9, v11
	v_sub_f16_sdwa v9, v11, v9 dst_sel:DWORD dst_unused:UNUSED_PAD src0_sel:WORD_1 src1_sel:WORD_1
	v_mul_f16_e32 v11, 0.5, v12
	v_mul_f16_e32 v12, 0.5, v13
	v_mul_f16_e32 v9, 0.5, v9
	s_waitcnt vmcnt(0)
	v_lshrrev_b32_e32 v13, 16, v7
	v_mul_f16_e32 v14, v13, v12
	v_fma_f16 v15, v11, v13, v9
	v_fma_f16 v13, v11, v13, -v9
	v_fma_f16 v16, v10, 0.5, v14
	v_fma_f16 v10, v10, 0.5, -v14
	v_fma_f16 v9, -v7, v12, v15
	v_fma_f16 v12, -v7, v12, v13
	v_fma_f16 v13, v7, v11, v16
	v_fma_f16 v10, -v7, v11, v10
	v_mov_b32_e32 v7, v6
	ds_write_b16 v0, v13
	v_mov_b32_e32 v6, v5
                                        ; implicit-def: $vgpr11
.LBB0_21:
	s_andn2_saveexec_b64 s[2:3], s[6:7]
	s_cbranch_execz .LBB0_23
; %bb.22:
	v_mov_b32_e32 v9, 0
	ds_read_u16 v12, v9 offset:1002
	v_mov_b32_e32 v6, 0
	s_waitcnt lgkmcnt(1)
	v_add_f16_sdwa v13, v11, v11 dst_sel:DWORD dst_unused:UNUSED_PAD src0_sel:WORD_1 src1_sel:DWORD
	v_sub_f16_sdwa v10, v11, v11 dst_sel:DWORD dst_unused:UNUSED_PAD src0_sel:DWORD src1_sel:WORD_1
	v_mov_b32_e32 v7, 0
	s_waitcnt lgkmcnt(0)
	v_xor_b32_e32 v11, 0x8000, v12
	v_mov_b32_e32 v12, 0
	ds_write_b16 v0, v13
	ds_write_b16 v9, v11 offset:1002
.LBB0_23:
	s_or_b64 exec, exec, s[2:3]
	s_add_u32 s2, s12, 0x7a8
	v_lshlrev_b64 v[6:7], 2, v[6:7]
	s_addc_u32 s3, s13, 0
	s_waitcnt lgkmcnt(0)
	v_mov_b32_e32 v11, s3
	v_add_co_u32_e64 v6, s[2:3], s2, v6
	v_addc_co_u32_e64 v7, s[2:3], v11, v7, s[2:3]
	global_load_dword v11, v[6:7], off offset:400
	s_mov_b32 s2, 0x5040100
	ds_write_b16 v0, v9 offset:2
	v_perm_b32 v9, v12, v10, s2
	ds_write_b32 v8, v9 offset:2000
	ds_read_b32 v9, v0 offset:400
	ds_read_b32 v10, v8 offset:1600
	s_mov_b32 s6, 0xffff
	s_waitcnt lgkmcnt(0)
	v_pk_add_f16 v12, v9, v10 neg_lo:[0,1] neg_hi:[0,1]
	v_pk_add_f16 v9, v9, v10
	v_bfi_b32 v10, s6, v12, v9
	v_bfi_b32 v9, s6, v9, v12
	v_pk_mul_f16 v10, v10, 0.5 op_sel_hi:[1,0]
	v_pk_mul_f16 v9, v9, 0.5 op_sel_hi:[1,0]
	s_waitcnt vmcnt(0)
	v_pk_fma_f16 v12, v11, v10, v9 op_sel:[1,0,0]
	v_pk_mul_f16 v13, v11, v10 op_sel_hi:[0,1]
	v_pk_fma_f16 v14, v11, v10, v9 op_sel:[1,0,0] neg_lo:[1,0,0] neg_hi:[1,0,0]
	v_pk_fma_f16 v9, v11, v10, v9 op_sel:[1,0,0] neg_lo:[0,0,1] neg_hi:[0,0,1]
	v_pk_add_f16 v10, v12, v13 op_sel:[0,1] op_sel_hi:[1,0]
	v_pk_add_f16 v11, v12, v13 op_sel:[0,1] op_sel_hi:[1,0] neg_lo:[0,1] neg_hi:[0,1]
	v_pk_add_f16 v12, v14, v13 op_sel:[0,1] op_sel_hi:[1,0] neg_lo:[0,1] neg_hi:[0,1]
	;; [unrolled: 1-line block ×3, first 2 shown]
	v_bfi_b32 v10, s6, v10, v11
	v_bfi_b32 v9, s6, v12, v9
	ds_write_b32 v0, v10 offset:400
	ds_write_b32 v8, v9 offset:1600
	s_and_saveexec_b64 s[2:3], s[0:1]
	s_cbranch_execz .LBB0_25
; %bb.24:
	global_load_dword v6, v[6:7], off offset:800
	ds_read_b32 v7, v0 offset:800
	ds_read_b32 v9, v8 offset:1200
	s_waitcnt lgkmcnt(0)
	v_pk_add_f16 v10, v7, v9 neg_lo:[0,1] neg_hi:[0,1]
	v_pk_add_f16 v7, v7, v9
	v_bfi_b32 v9, s6, v10, v7
	v_bfi_b32 v7, s6, v7, v10
	v_pk_mul_f16 v9, v9, 0.5 op_sel_hi:[1,0]
	v_pk_mul_f16 v7, v7, 0.5 op_sel_hi:[1,0]
	s_waitcnt vmcnt(0)
	v_pk_fma_f16 v10, v6, v9, v7 op_sel:[1,0,0]
	v_pk_mul_f16 v11, v6, v9 op_sel_hi:[0,1]
	v_pk_fma_f16 v12, v6, v9, v7 op_sel:[1,0,0] neg_lo:[1,0,0] neg_hi:[1,0,0]
	v_pk_fma_f16 v6, v6, v9, v7 op_sel:[1,0,0] neg_lo:[0,0,1] neg_hi:[0,0,1]
	v_pk_add_f16 v7, v10, v11 op_sel:[0,1] op_sel_hi:[1,0]
	v_pk_add_f16 v9, v10, v11 op_sel:[0,1] op_sel_hi:[1,0] neg_lo:[0,1] neg_hi:[0,1]
	v_pk_add_f16 v10, v12, v11 op_sel:[0,1] op_sel_hi:[1,0] neg_lo:[0,1] neg_hi:[0,1]
	v_pk_add_f16 v6, v6, v11 op_sel:[0,1] op_sel_hi:[1,0] neg_lo:[0,1] neg_hi:[0,1]
	v_bfi_b32 v7, s6, v7, v9
	v_bfi_b32 v6, s6, v10, v6
	ds_write_b32 v0, v7 offset:800
	ds_write_b32 v8, v6 offset:1200
.LBB0_25:
	s_or_b64 exec, exec, s[2:3]
	s_waitcnt lgkmcnt(0)
	s_barrier
	s_and_saveexec_b64 s[0:1], vcc
	s_cbranch_execz .LBB0_28
; %bb.26:
	v_mul_lo_u32 v0, s5, v3
	v_mul_lo_u32 v6, s4, v4
	v_mad_u64_u32 v[3:4], s[0:1], s4, v3, 0
	v_lshl_add_u32 v9, v5, 2, 0
	ds_read2_b32 v[7:8], v9 offset1:100
	v_add3_u32 v4, v4, v6, v0
	v_lshlrev_b64 v[3:4], 2, v[3:4]
	v_mov_b32_e32 v0, s11
	v_add_co_u32_e32 v3, vcc, s10, v3
	v_addc_co_u32_e32 v4, vcc, v0, v4, vcc
	v_lshlrev_b64 v[0:1], 2, v[1:2]
	v_mov_b32_e32 v6, 0
	v_add_co_u32_e32 v0, vcc, v3, v0
	v_lshlrev_b64 v[2:3], 2, v[5:6]
	v_addc_co_u32_e32 v1, vcc, v4, v1, vcc
	v_add_co_u32_e32 v2, vcc, v0, v2
	v_addc_co_u32_e32 v3, vcc, v1, v3, vcc
	s_waitcnt lgkmcnt(0)
	global_store_dword v[2:3], v7, off
	v_add_u32_e32 v2, 0x64, v5
	v_mov_b32_e32 v3, v6
	v_lshlrev_b64 v[2:3], 2, v[2:3]
	v_add_u32_e32 v4, 0x200, v9
	v_add_co_u32_e32 v2, vcc, v0, v2
	v_addc_co_u32_e32 v3, vcc, v1, v3, vcc
	global_store_dword v[2:3], v8, off
	v_add_u32_e32 v2, 0xc8, v5
	v_mov_b32_e32 v3, v6
	ds_read2_b32 v[7:8], v4 offset0:72 offset1:172
	v_lshlrev_b64 v[2:3], 2, v[2:3]
	ds_read_b32 v4, v9 offset:1600
	v_add_co_u32_e32 v2, vcc, v0, v2
	v_addc_co_u32_e32 v3, vcc, v1, v3, vcc
	s_waitcnt lgkmcnt(1)
	global_store_dword v[2:3], v7, off
	v_add_u32_e32 v2, 0x12c, v5
	v_mov_b32_e32 v3, v6
	v_lshlrev_b64 v[2:3], 2, v[2:3]
	s_movk_i32 s0, 0x63
	v_add_co_u32_e32 v2, vcc, v0, v2
	v_addc_co_u32_e32 v3, vcc, v1, v3, vcc
	global_store_dword v[2:3], v8, off
	v_add_u32_e32 v2, 0x190, v5
	v_mov_b32_e32 v3, v6
	v_lshlrev_b64 v[2:3], 2, v[2:3]
	v_add_co_u32_e32 v2, vcc, v0, v2
	v_addc_co_u32_e32 v3, vcc, v1, v3, vcc
	v_cmp_eq_u32_e32 vcc, s0, v5
	s_waitcnt lgkmcnt(0)
	global_store_dword v[2:3], v4, off
	s_and_b64 exec, exec, vcc
	s_cbranch_execz .LBB0_28
; %bb.27:
	ds_read_b32 v2, v6 offset:2000
	s_waitcnt lgkmcnt(0)
	global_store_dword v[0:1], v2, off offset:2000
.LBB0_28:
	s_endpgm
	.section	.rodata,"a",@progbits
	.p2align	6, 0x0
	.amdhsa_kernel fft_rtc_back_len500_factors_10_5_10_wgs_100_tpt_100_halfLds_half_op_CI_CI_unitstride_sbrr_R2C_dirReg
		.amdhsa_group_segment_fixed_size 0
		.amdhsa_private_segment_fixed_size 0
		.amdhsa_kernarg_size 104
		.amdhsa_user_sgpr_count 6
		.amdhsa_user_sgpr_private_segment_buffer 1
		.amdhsa_user_sgpr_dispatch_ptr 0
		.amdhsa_user_sgpr_queue_ptr 0
		.amdhsa_user_sgpr_kernarg_segment_ptr 1
		.amdhsa_user_sgpr_dispatch_id 0
		.amdhsa_user_sgpr_flat_scratch_init 0
		.amdhsa_user_sgpr_private_segment_size 0
		.amdhsa_uses_dynamic_stack 0
		.amdhsa_system_sgpr_private_segment_wavefront_offset 0
		.amdhsa_system_sgpr_workgroup_id_x 1
		.amdhsa_system_sgpr_workgroup_id_y 0
		.amdhsa_system_sgpr_workgroup_id_z 0
		.amdhsa_system_sgpr_workgroup_info 0
		.amdhsa_system_vgpr_workitem_id 0
		.amdhsa_next_free_vgpr 47
		.amdhsa_next_free_sgpr 28
		.amdhsa_reserve_vcc 1
		.amdhsa_reserve_flat_scratch 0
		.amdhsa_float_round_mode_32 0
		.amdhsa_float_round_mode_16_64 0
		.amdhsa_float_denorm_mode_32 3
		.amdhsa_float_denorm_mode_16_64 3
		.amdhsa_dx10_clamp 1
		.amdhsa_ieee_mode 1
		.amdhsa_fp16_overflow 0
		.amdhsa_exception_fp_ieee_invalid_op 0
		.amdhsa_exception_fp_denorm_src 0
		.amdhsa_exception_fp_ieee_div_zero 0
		.amdhsa_exception_fp_ieee_overflow 0
		.amdhsa_exception_fp_ieee_underflow 0
		.amdhsa_exception_fp_ieee_inexact 0
		.amdhsa_exception_int_div_zero 0
	.end_amdhsa_kernel
	.text
.Lfunc_end0:
	.size	fft_rtc_back_len500_factors_10_5_10_wgs_100_tpt_100_halfLds_half_op_CI_CI_unitstride_sbrr_R2C_dirReg, .Lfunc_end0-fft_rtc_back_len500_factors_10_5_10_wgs_100_tpt_100_halfLds_half_op_CI_CI_unitstride_sbrr_R2C_dirReg
                                        ; -- End function
	.section	.AMDGPU.csdata,"",@progbits
; Kernel info:
; codeLenInByte = 5984
; NumSgprs: 32
; NumVgprs: 47
; ScratchSize: 0
; MemoryBound: 0
; FloatMode: 240
; IeeeMode: 1
; LDSByteSize: 0 bytes/workgroup (compile time only)
; SGPRBlocks: 3
; VGPRBlocks: 11
; NumSGPRsForWavesPerEU: 32
; NumVGPRsForWavesPerEU: 47
; Occupancy: 5
; WaveLimiterHint : 1
; COMPUTE_PGM_RSRC2:SCRATCH_EN: 0
; COMPUTE_PGM_RSRC2:USER_SGPR: 6
; COMPUTE_PGM_RSRC2:TRAP_HANDLER: 0
; COMPUTE_PGM_RSRC2:TGID_X_EN: 1
; COMPUTE_PGM_RSRC2:TGID_Y_EN: 0
; COMPUTE_PGM_RSRC2:TGID_Z_EN: 0
; COMPUTE_PGM_RSRC2:TIDIG_COMP_CNT: 0
	.type	__hip_cuid_c3e5386e612d6fa3,@object ; @__hip_cuid_c3e5386e612d6fa3
	.section	.bss,"aw",@nobits
	.globl	__hip_cuid_c3e5386e612d6fa3
__hip_cuid_c3e5386e612d6fa3:
	.byte	0                               ; 0x0
	.size	__hip_cuid_c3e5386e612d6fa3, 1

	.ident	"AMD clang version 19.0.0git (https://github.com/RadeonOpenCompute/llvm-project roc-6.4.0 25133 c7fe45cf4b819c5991fe208aaa96edf142730f1d)"
	.section	".note.GNU-stack","",@progbits
	.addrsig
	.addrsig_sym __hip_cuid_c3e5386e612d6fa3
	.amdgpu_metadata
---
amdhsa.kernels:
  - .args:
      - .actual_access:  read_only
        .address_space:  global
        .offset:         0
        .size:           8
        .value_kind:     global_buffer
      - .offset:         8
        .size:           8
        .value_kind:     by_value
      - .actual_access:  read_only
        .address_space:  global
        .offset:         16
        .size:           8
        .value_kind:     global_buffer
      - .actual_access:  read_only
        .address_space:  global
        .offset:         24
        .size:           8
        .value_kind:     global_buffer
      - .actual_access:  read_only
        .address_space:  global
        .offset:         32
        .size:           8
        .value_kind:     global_buffer
      - .offset:         40
        .size:           8
        .value_kind:     by_value
      - .actual_access:  read_only
        .address_space:  global
        .offset:         48
        .size:           8
        .value_kind:     global_buffer
      - .actual_access:  read_only
        .address_space:  global
        .offset:         56
        .size:           8
        .value_kind:     global_buffer
      - .offset:         64
        .size:           4
        .value_kind:     by_value
      - .actual_access:  read_only
        .address_space:  global
        .offset:         72
        .size:           8
        .value_kind:     global_buffer
      - .actual_access:  read_only
        .address_space:  global
        .offset:         80
        .size:           8
        .value_kind:     global_buffer
      - .actual_access:  read_only
        .address_space:  global
        .offset:         88
        .size:           8
        .value_kind:     global_buffer
      - .actual_access:  write_only
        .address_space:  global
        .offset:         96
        .size:           8
        .value_kind:     global_buffer
    .group_segment_fixed_size: 0
    .kernarg_segment_align: 8
    .kernarg_segment_size: 104
    .language:       OpenCL C
    .language_version:
      - 2
      - 0
    .max_flat_workgroup_size: 100
    .name:           fft_rtc_back_len500_factors_10_5_10_wgs_100_tpt_100_halfLds_half_op_CI_CI_unitstride_sbrr_R2C_dirReg
    .private_segment_fixed_size: 0
    .sgpr_count:     32
    .sgpr_spill_count: 0
    .symbol:         fft_rtc_back_len500_factors_10_5_10_wgs_100_tpt_100_halfLds_half_op_CI_CI_unitstride_sbrr_R2C_dirReg.kd
    .uniform_work_group_size: 1
    .uses_dynamic_stack: false
    .vgpr_count:     47
    .vgpr_spill_count: 0
    .wavefront_size: 64
amdhsa.target:   amdgcn-amd-amdhsa--gfx906
amdhsa.version:
  - 1
  - 2
...

	.end_amdgpu_metadata
